;; amdgpu-corpus repo=pytorch/pytorch kind=compiled arch=gfx906 opt=O3
	.amdgcn_target "amdgcn-amd-amdhsa--gfx906"
	.amdhsa_code_object_version 6
	.section	.text._ZN2at6native6detailL51split_with_sizes_copy_out_contiguous_no_cast_kernelEPPcS3_PlS4_S4_ll,"axG",@progbits,_ZN2at6native6detailL51split_with_sizes_copy_out_contiguous_no_cast_kernelEPPcS3_PlS4_S4_ll,comdat
	.globl	_ZN2at6native6detailL51split_with_sizes_copy_out_contiguous_no_cast_kernelEPPcS3_PlS4_S4_ll ; -- Begin function _ZN2at6native6detailL51split_with_sizes_copy_out_contiguous_no_cast_kernelEPPcS3_PlS4_S4_ll
	.p2align	8
	.type	_ZN2at6native6detailL51split_with_sizes_copy_out_contiguous_no_cast_kernelEPPcS3_PlS4_S4_ll,@function
_ZN2at6native6detailL51split_with_sizes_copy_out_contiguous_no_cast_kernelEPPcS3_PlS4_S4_ll: ; @_ZN2at6native6detailL51split_with_sizes_copy_out_contiguous_no_cast_kernelEPPcS3_PlS4_S4_ll
; %bb.0:
	s_load_dwordx4 s[16:19], s[4:5], 0x30
	s_mov_b32 s28, s7
	s_mov_b32 s29, 0
	v_mov_b32_e32 v1, s28
	v_mov_b32_e32 v2, s29
	s_waitcnt lgkmcnt(0)
	v_cmp_le_i64_e32 vcc, s[16:17], v[1:2]
	s_cbranch_vccnz .LBB0_14
; %bb.1:
	s_load_dwordx8 s[8:15], s[4:5], 0x0
	s_mov_b32 s7, s29
	s_lshl_b64 s[0:1], s[6:7], 3
	v_mov_b32_e32 v4, 0
	v_lshlrev_b32_e32 v3, 4, v0
	s_waitcnt lgkmcnt(0)
	s_add_u32 s0, s14, s0
	s_addc_u32 s1, s15, s1
	s_load_dwordx2 s[2:3], s[0:1], 0x0
	s_load_dwordx4 s[20:23], s[4:5], 0x20
	s_load_dword s30, s[4:5], 0x3c
	s_load_dword s14, s[4:5], 0x44
	s_waitcnt lgkmcnt(0)
	s_lshl_b64 s[0:1], s[2:3], 3
	s_add_u32 s2, s20, s0
	s_addc_u32 s3, s21, s1
	s_load_dwordx4 s[24:27], s[2:3], 0x0
	s_and_b32 s20, s14, 0xffff
	s_waitcnt lgkmcnt(0)
	s_sub_u32 s2, s6, s24
	s_subb_u32 s3, 0, s25
	s_mul_hi_u32 s5, s2, s20
	s_mul_i32 s3, s3, s20
	s_add_i32 s5, s5, s3
	s_mul_i32 s4, s2, s20
	s_add_u32 s2, s12, s0
	s_addc_u32 s3, s13, s1
	s_load_dwordx2 s[12:13], s[2:3], 0x0
	s_add_u32 s2, s8, s0
	s_addc_u32 s3, s9, s1
	s_add_u32 s0, s10, s0
	s_addc_u32 s1, s11, s1
	s_load_dwordx2 s[10:11], s[0:1], 0x0
	s_sub_u32 s0, s26, s24
	s_subb_u32 s1, s27, s25
	s_load_dwordx2 s[8:9], s[2:3], 0x0
	s_mul_i32 s1, s1, s20
	s_mul_hi_u32 s2, s0, s20
	s_add_i32 s3, s2, s1
	s_mul_i32 s2, s0, s20
	v_mov_b32_e32 v6, s3
	s_lshl_b64 s[14:15], s[2:3], 4
	s_lshl_b64 s[6:7], s[6:7], 4
	;; [unrolled: 1-line block ×3, first 2 shown]
	v_add_co_u32_e32 v1, vcc, s4, v0
	v_mov_b32_e32 v5, s2
	s_sub_u32 s2, s6, s18
	v_mov_b32_e32 v0, s20
	s_waitcnt lgkmcnt(0)
	v_cmp_ge_i64_e64 s[0:1], s[12:13], v[5:6]
	v_mad_u64_u32 v[4:5], s[2:3], s2, v0, v[3:4]
	s_subb_u32 s6, s7, s19
	s_mul_i32 s6, s6, s20
	v_add_u32_e32 v5, s6, v5
	s_mul_i32 s6, s13, s28
	s_mul_hi_u32 s7, s12, s28
	s_add_i32 s7, s7, s6
	s_mul_i32 s6, s12, s28
	v_mov_b32_e32 v2, s5
	s_add_u32 s6, s8, s6
	v_addc_co_u32_e32 v2, vcc, 0, v2, vcc
	s_addc_u32 s7, s9, s7
	v_mov_b32_e32 v6, s7
	v_subrev_co_u32_e32 v0, vcc, s6, v4
	s_mul_i32 s6, s13, s30
	s_mul_hi_u32 s7, s12, s30
	s_add_i32 s6, s7, s6
	s_lshl_b64 s[4:5], s[4:5], 4
	s_sub_u32 s7, s22, s12
	s_subb_u32 s18, s23, s13
	s_mul_i32 s19, s18, s28
	s_mul_hi_u32 s20, s7, s28
	s_add_i32 s20, s20, s19
	s_mul_i32 s19, s7, s28
	s_add_u32 s19, s4, s19
	v_subb_co_u32_e32 v5, vcc, v5, v6, vcc
	s_addc_u32 s20, s5, s20
	v_mov_b32_e32 v4, s20
	v_add_co_u32_e32 v6, vcc, s19, v3
	v_addc_co_u32_e32 v4, vcc, 0, v4, vcc
	v_mov_b32_e32 v7, s9
	v_subrev_co_u32_e32 v6, vcc, s8, v6
	v_subb_co_u32_e32 v4, vcc, v4, v7, vcc
	v_mov_b32_e32 v7, s11
	v_add_co_u32_e32 v6, vcc, s10, v6
	v_addc_co_u32_e32 v7, vcc, v7, v4, vcc
	v_mov_b32_e32 v4, s5
	v_add_co_u32_e32 v3, vcc, s4, v3
	v_addc_co_u32_e32 v4, vcc, 0, v4, vcc
	v_mov_b32_e32 v8, s9
	v_subrev_co_u32_e32 v3, vcc, s8, v3
	v_subb_co_u32_e32 v4, vcc, v4, v8, vcc
	v_cmp_gt_i64_e64 s[2:3], s[12:13], v[1:2]
	s_mul_i32 s18, s18, s30
	s_mul_hi_u32 s19, s7, s30
	v_mov_b32_e32 v9, s9
	v_add_co_u32_e32 v8, vcc, s8, v3
	s_mul_i32 s31, s12, s30
	s_add_i32 s33, s19, s18
	s_mul_i32 s34, s7, s30
	v_addc_co_u32_e32 v9, vcc, v9, v4, vcc
	v_mov_b32_e32 v10, s6
	s_branch .LBB0_3
.LBB0_2:                                ;   in Loop: Header=BB0_3 Depth=1
	s_or_b64 exec, exec, s[6:7]
	s_add_u32 s28, s28, s30
	v_subrev_co_u32_e32 v0, vcc, s31, v0
	v_mov_b32_e32 v3, s16
	s_addc_u32 s29, s29, 0
	v_subb_co_u32_e32 v5, vcc, v5, v10, vcc
	v_mov_b32_e32 v4, s17
	v_cmp_ge_i64_e32 vcc, s[28:29], v[3:4]
	v_mov_b32_e32 v11, s33
	v_add_co_u32_e64 v6, s[4:5], s34, v6
	v_addc_co_u32_e64 v7, s[4:5], v7, v11, s[4:5]
	s_cbranch_vccnz .LBB0_14
.LBB0_3:                                ; =>This Loop Header: Depth=1
                                        ;     Child Loop BB0_6 Depth 2
	s_mul_i32 s4, s28, s13
	s_mul_hi_u32 s5, s28, s12
	s_add_i32 s4, s5, s4
	s_mul_i32 s5, s29, s12
	s_add_i32 s4, s4, s5
	s_mul_i32 s5, s28, s12
	s_add_u32 s35, s8, s5
	s_addc_u32 s36, s9, s4
	s_mul_i32 s4, s28, s23
	s_mul_hi_u32 s5, s28, s22
	s_add_i32 s4, s5, s4
	s_mul_i32 s5, s29, s22
	s_add_i32 s4, s4, s5
	s_mul_i32 s5, s28, s22
	s_add_u32 s37, s10, s5
	s_addc_u32 s38, s11, s4
	s_and_b64 vcc, exec, s[0:1]
	s_cbranch_vccz .LBB0_10
; %bb.4:                                ;   in Loop: Header=BB0_3 Depth=1
	s_add_u32 s4, s35, 15
	s_addc_u32 s5, s36, 0
	s_ashr_i32 s6, s5, 31
	s_lshr_b32 s6, s6, 28
	s_add_u32 s4, s4, s6
	s_addc_u32 s5, s5, 0
	s_and_b32 s4, s4, -16
	s_sub_u32 s18, s4, s35
	s_subb_u32 s19, s5, s36
	s_sub_u32 s6, s12, s18
	s_subb_u32 s7, s13, s19
	s_ashr_i32 s20, s7, 31
	s_lshr_b32 s20, s20, 28
	s_add_u32 s6, s6, s20
	v_lshlrev_b64 v[3:4], 4, v[1:2]
	s_addc_u32 s21, s7, 0
	s_and_b32 s20, s6, -16
	s_add_u32 s6, s20, s18
	v_cmp_gt_i64_e32 vcc, s[20:21], v[3:4]
	s_addc_u32 s7, s21, s19
	s_and_saveexec_b64 s[20:21], vcc
	s_cbranch_execz .LBB0_7
; %bb.5:                                ;   in Loop: Header=BB0_3 Depth=1
	v_mov_b32_e32 v4, s5
	v_add_co_u32_e32 v3, vcc, s4, v0
	v_addc_co_u32_e32 v4, vcc, v5, v4, vcc
	v_mov_b32_e32 v12, s5
	v_add_co_u32_e32 v11, vcc, s4, v6
	v_addc_co_u32_e32 v12, vcc, v7, v12, vcc
	;; [unrolled: 3-line block ×3, first 2 shown]
	s_mov_b64 s[24:25], 0
	s_mov_b64 s[26:27], 0
.LBB0_6:                                ;   Parent Loop BB0_3 Depth=1
                                        ; =>  This Inner Loop Header: Depth=2
	v_mov_b32_e32 v22, s27
	v_add_co_u32_e32 v15, vcc, s26, v11
	v_addc_co_u32_e32 v16, vcc, v12, v22, vcc
	flat_load_dwordx4 v[15:18], v[15:16]
	v_add_co_u32_e32 v19, vcc, s26, v13
	s_add_u32 s26, s26, s14
	s_addc_u32 s27, s27, s15
	v_mov_b32_e32 v21, s27
	v_add_co_u32_e64 v20, s[4:5], s26, v3
	v_addc_co_u32_e64 v21, s[4:5], v4, v21, s[4:5]
	v_cmp_le_i64_e64 s[4:5], s[6:7], v[20:21]
	v_addc_co_u32_e32 v20, vcc, v14, v22, vcc
	s_or_b64 s[24:25], s[4:5], s[24:25]
	s_waitcnt vmcnt(0) lgkmcnt(0)
	flat_store_dwordx4 v[19:20], v[15:18]
	s_andn2_b64 exec, exec, s[24:25]
	s_cbranch_execnz .LBB0_6
.LBB0_7:                                ;   in Loop: Header=BB0_3 Depth=1
	s_or_b64 exec, exec, s[20:21]
	v_cmp_gt_i64_e32 vcc, s[18:19], v[1:2]
	s_and_b64 s[18:19], s[2:3], vcc
	s_and_saveexec_b64 s[4:5], s[18:19]
	s_cbranch_execz .LBB0_9
; %bb.8:                                ;   in Loop: Header=BB0_3 Depth=1
	v_mov_b32_e32 v4, s38
	v_add_co_u32_e32 v3, vcc, s37, v1
	v_addc_co_u32_e32 v4, vcc, v4, v2, vcc
	flat_load_ubyte v11, v[3:4]
	v_mov_b32_e32 v4, s36
	v_add_co_u32_e32 v3, vcc, s35, v1
	v_addc_co_u32_e32 v4, vcc, v4, v2, vcc
	s_waitcnt vmcnt(0) lgkmcnt(0)
	flat_store_byte v[3:4], v11
.LBB0_9:                                ;   in Loop: Header=BB0_3 Depth=1
	s_or_b64 exec, exec, s[4:5]
	v_mov_b32_e32 v4, s7
	v_add_co_u32_e32 v3, vcc, s6, v1
	v_addc_co_u32_e32 v4, vcc, v4, v2, vcc
	v_cmp_gt_i64_e64 s[4:5], s[12:13], v[3:4]
	s_branch .LBB0_12
.LBB0_10:                               ;   in Loop: Header=BB0_3 Depth=1
	s_mov_b64 s[4:5], 0
                                        ; implicit-def: $vgpr3_vgpr4
	s_cbranch_execz .LBB0_12
; %bb.11:                               ;   in Loop: Header=BB0_3 Depth=1
	s_andn2_b64 s[4:5], s[4:5], exec
	s_and_b64 s[6:7], s[2:3], exec
	v_mov_b32_e32 v4, v2
	s_or_b64 s[4:5], s[4:5], s[6:7]
	v_mov_b32_e32 v3, v1
.LBB0_12:                               ;   in Loop: Header=BB0_3 Depth=1
	s_and_saveexec_b64 s[6:7], s[4:5]
	s_cbranch_execz .LBB0_2
; %bb.13:                               ;   in Loop: Header=BB0_3 Depth=1
	v_mov_b32_e32 v12, s38
	v_add_co_u32_e32 v11, vcc, s37, v3
	v_addc_co_u32_e32 v12, vcc, v12, v4, vcc
	flat_load_ubyte v11, v[11:12]
	v_mov_b32_e32 v12, s36
	v_add_co_u32_e32 v3, vcc, s35, v3
	v_addc_co_u32_e32 v4, vcc, v12, v4, vcc
	s_waitcnt vmcnt(0) lgkmcnt(0)
	flat_store_byte v[3:4], v11
	s_branch .LBB0_2
.LBB0_14:
	s_endpgm
	.section	.rodata,"a",@progbits
	.p2align	6, 0x0
	.amdhsa_kernel _ZN2at6native6detailL51split_with_sizes_copy_out_contiguous_no_cast_kernelEPPcS3_PlS4_S4_ll
		.amdhsa_group_segment_fixed_size 0
		.amdhsa_private_segment_fixed_size 0
		.amdhsa_kernarg_size 312
		.amdhsa_user_sgpr_count 6
		.amdhsa_user_sgpr_private_segment_buffer 1
		.amdhsa_user_sgpr_dispatch_ptr 0
		.amdhsa_user_sgpr_queue_ptr 0
		.amdhsa_user_sgpr_kernarg_segment_ptr 1
		.amdhsa_user_sgpr_dispatch_id 0
		.amdhsa_user_sgpr_flat_scratch_init 0
		.amdhsa_user_sgpr_private_segment_size 0
		.amdhsa_uses_dynamic_stack 0
		.amdhsa_system_sgpr_private_segment_wavefront_offset 0
		.amdhsa_system_sgpr_workgroup_id_x 1
		.amdhsa_system_sgpr_workgroup_id_y 1
		.amdhsa_system_sgpr_workgroup_id_z 0
		.amdhsa_system_sgpr_workgroup_info 0
		.amdhsa_system_vgpr_workitem_id 0
		.amdhsa_next_free_vgpr 23
		.amdhsa_next_free_sgpr 39
		.amdhsa_reserve_vcc 1
		.amdhsa_reserve_flat_scratch 0
		.amdhsa_float_round_mode_32 0
		.amdhsa_float_round_mode_16_64 0
		.amdhsa_float_denorm_mode_32 3
		.amdhsa_float_denorm_mode_16_64 3
		.amdhsa_dx10_clamp 1
		.amdhsa_ieee_mode 1
		.amdhsa_fp16_overflow 0
		.amdhsa_exception_fp_ieee_invalid_op 0
		.amdhsa_exception_fp_denorm_src 0
		.amdhsa_exception_fp_ieee_div_zero 0
		.amdhsa_exception_fp_ieee_overflow 0
		.amdhsa_exception_fp_ieee_underflow 0
		.amdhsa_exception_fp_ieee_inexact 0
		.amdhsa_exception_int_div_zero 0
	.end_amdhsa_kernel
	.section	.text._ZN2at6native6detailL51split_with_sizes_copy_out_contiguous_no_cast_kernelEPPcS3_PlS4_S4_ll,"axG",@progbits,_ZN2at6native6detailL51split_with_sizes_copy_out_contiguous_no_cast_kernelEPPcS3_PlS4_S4_ll,comdat
.Lfunc_end0:
	.size	_ZN2at6native6detailL51split_with_sizes_copy_out_contiguous_no_cast_kernelEPPcS3_PlS4_S4_ll, .Lfunc_end0-_ZN2at6native6detailL51split_with_sizes_copy_out_contiguous_no_cast_kernelEPPcS3_PlS4_S4_ll
                                        ; -- End function
	.set _ZN2at6native6detailL51split_with_sizes_copy_out_contiguous_no_cast_kernelEPPcS3_PlS4_S4_ll.num_vgpr, 23
	.set _ZN2at6native6detailL51split_with_sizes_copy_out_contiguous_no_cast_kernelEPPcS3_PlS4_S4_ll.num_agpr, 0
	.set _ZN2at6native6detailL51split_with_sizes_copy_out_contiguous_no_cast_kernelEPPcS3_PlS4_S4_ll.numbered_sgpr, 39
	.set _ZN2at6native6detailL51split_with_sizes_copy_out_contiguous_no_cast_kernelEPPcS3_PlS4_S4_ll.num_named_barrier, 0
	.set _ZN2at6native6detailL51split_with_sizes_copy_out_contiguous_no_cast_kernelEPPcS3_PlS4_S4_ll.private_seg_size, 0
	.set _ZN2at6native6detailL51split_with_sizes_copy_out_contiguous_no_cast_kernelEPPcS3_PlS4_S4_ll.uses_vcc, 1
	.set _ZN2at6native6detailL51split_with_sizes_copy_out_contiguous_no_cast_kernelEPPcS3_PlS4_S4_ll.uses_flat_scratch, 0
	.set _ZN2at6native6detailL51split_with_sizes_copy_out_contiguous_no_cast_kernelEPPcS3_PlS4_S4_ll.has_dyn_sized_stack, 0
	.set _ZN2at6native6detailL51split_with_sizes_copy_out_contiguous_no_cast_kernelEPPcS3_PlS4_S4_ll.has_recursion, 0
	.set _ZN2at6native6detailL51split_with_sizes_copy_out_contiguous_no_cast_kernelEPPcS3_PlS4_S4_ll.has_indirect_call, 0
	.section	.AMDGPU.csdata,"",@progbits
; Kernel info:
; codeLenInByte = 1032
; TotalNumSgprs: 43
; NumVgprs: 23
; ScratchSize: 0
; MemoryBound: 0
; FloatMode: 240
; IeeeMode: 1
; LDSByteSize: 0 bytes/workgroup (compile time only)
; SGPRBlocks: 5
; VGPRBlocks: 5
; NumSGPRsForWavesPerEU: 43
; NumVGPRsForWavesPerEU: 23
; Occupancy: 10
; WaveLimiterHint : 1
; COMPUTE_PGM_RSRC2:SCRATCH_EN: 0
; COMPUTE_PGM_RSRC2:USER_SGPR: 6
; COMPUTE_PGM_RSRC2:TRAP_HANDLER: 0
; COMPUTE_PGM_RSRC2:TGID_X_EN: 1
; COMPUTE_PGM_RSRC2:TGID_Y_EN: 1
; COMPUTE_PGM_RSRC2:TGID_Z_EN: 0
; COMPUTE_PGM_RSRC2:TIDIG_COMP_CNT: 0
	.section	.text._ZN2at6native6detailL21chunk_cat_cuda_kernelIccEEvPPT0_PT_PlS8_S8_S8_S8_S8_lll,"axG",@progbits,_ZN2at6native6detailL21chunk_cat_cuda_kernelIccEEvPPT0_PT_PlS8_S8_S8_S8_S8_lll,comdat
	.globl	_ZN2at6native6detailL21chunk_cat_cuda_kernelIccEEvPPT0_PT_PlS8_S8_S8_S8_S8_lll ; -- Begin function _ZN2at6native6detailL21chunk_cat_cuda_kernelIccEEvPPT0_PT_PlS8_S8_S8_S8_S8_lll
	.p2align	8
	.type	_ZN2at6native6detailL21chunk_cat_cuda_kernelIccEEvPPT0_PT_PlS8_S8_S8_S8_S8_lll,@function
_ZN2at6native6detailL21chunk_cat_cuda_kernelIccEEvPPT0_PT_PlS8_S8_S8_S8_S8_lll: ; @_ZN2at6native6detailL21chunk_cat_cuda_kernelIccEEvPPT0_PT_PlS8_S8_S8_S8_S8_lll
; %bb.0:
	s_load_dwordx16 s[12:27], s[4:5], 0x0
	s_mov_b32 s0, s7
	s_mov_b32 s7, 0
	s_lshl_b64 s[2:3], s[6:7], 3
	s_waitcnt lgkmcnt(0)
	s_add_u32 s2, s16, s2
	s_addc_u32 s3, s17, s3
	s_load_dwordx2 s[2:3], s[2:3], 0x0
	s_waitcnt lgkmcnt(0)
	s_lshl_b64 s[28:29], s[2:3], 3
	s_add_u32 s30, s20, s28
	s_addc_u32 s31, s21, s29
	s_add_u32 s16, s26, s28
	s_addc_u32 s17, s27, s29
	;; [unrolled: 2-line block ×5, first 2 shown]
	s_load_dwordx2 s[2:3], s[12:13], 0x0
	s_load_dwordx2 s[10:11], s[4:5], 0x50
	s_waitcnt lgkmcnt(0)
	s_mul_i32 s1, s3, s0
	s_mul_hi_u32 s9, s2, s0
	s_add_i32 s25, s9, s1
	s_mul_i32 s24, s2, s0
	s_or_b64 s[12:13], s[24:25], s[10:11]
	s_mov_b32 s12, s7
	s_cmp_lg_u64 s[12:13], 0
	s_cbranch_scc0 .LBB1_26
; %bb.1:
	s_ashr_i32 s12, s11, 31
	s_add_u32 s20, s10, s12
	s_mov_b32 s13, s12
	s_addc_u32 s21, s11, s12
	s_xor_b64 s[20:21], s[20:21], s[12:13]
	v_cvt_f32_u32_e32 v1, s20
	v_cvt_f32_u32_e32 v2, s21
	s_sub_u32 s1, 0, s20
	s_subb_u32 s9, 0, s21
	v_madmk_f32 v1, v2, 0x4f800000, v1
	v_rcp_f32_e32 v1, v1
	v_mul_f32_e32 v1, 0x5f7ffffc, v1
	v_mul_f32_e32 v2, 0x2f800000, v1
	v_trunc_f32_e32 v2, v2
	v_madmk_f32 v1, v2, 0xcf800000, v1
	v_cvt_u32_f32_e32 v2, v2
	v_cvt_u32_f32_e32 v1, v1
	v_readfirstlane_b32 s33, v2
	v_readfirstlane_b32 s22, v1
	s_mul_i32 s23, s1, s33
	s_mul_hi_u32 s39, s1, s22
	s_mul_i32 s38, s9, s22
	s_add_i32 s23, s39, s23
	s_add_i32 s23, s23, s38
	s_mul_i32 s40, s1, s22
	s_mul_i32 s39, s22, s23
	s_mul_hi_u32 s41, s22, s40
	s_mul_hi_u32 s38, s22, s23
	s_add_u32 s39, s41, s39
	s_addc_u32 s38, 0, s38
	s_mul_hi_u32 s42, s33, s40
	s_mul_i32 s40, s33, s40
	s_add_u32 s39, s39, s40
	s_mul_hi_u32 s41, s33, s23
	s_addc_u32 s38, s38, s42
	s_addc_u32 s39, s41, 0
	s_mul_i32 s23, s33, s23
	s_add_u32 s23, s38, s23
	s_addc_u32 s38, 0, s39
	s_add_u32 s39, s22, s23
	s_cselect_b64 s[22:23], -1, 0
	s_cmp_lg_u64 s[22:23], 0
	s_addc_u32 s33, s33, s38
	s_mul_i32 s22, s1, s33
	s_mul_hi_u32 s23, s1, s39
	s_add_i32 s22, s23, s22
	s_mul_i32 s9, s9, s39
	s_add_i32 s22, s22, s9
	s_mul_i32 s1, s1, s39
	s_mul_hi_u32 s23, s33, s1
	s_mul_i32 s38, s33, s1
	s_mul_i32 s41, s39, s22
	s_mul_hi_u32 s1, s39, s1
	s_mul_hi_u32 s40, s39, s22
	s_add_u32 s1, s1, s41
	s_addc_u32 s40, 0, s40
	s_add_u32 s1, s1, s38
	s_mul_hi_u32 s9, s33, s22
	s_addc_u32 s1, s40, s23
	s_addc_u32 s9, s9, 0
	s_mul_i32 s22, s33, s22
	s_add_u32 s1, s1, s22
	s_addc_u32 s9, 0, s9
	s_add_u32 s1, s39, s1
	s_cselect_b64 s[22:23], -1, 0
	s_cmp_lg_u64 s[22:23], 0
	s_addc_u32 s9, s33, s9
	s_ashr_i32 s22, s25, 31
	s_add_u32 s38, s24, s22
	s_mov_b32 s23, s22
	s_addc_u32 s39, s25, s22
	s_xor_b64 s[38:39], s[38:39], s[22:23]
	s_mul_i32 s33, s38, s9
	s_mul_hi_u32 s40, s38, s1
	s_mul_hi_u32 s25, s38, s9
	s_add_u32 s33, s40, s33
	s_addc_u32 s25, 0, s25
	s_mul_hi_u32 s41, s39, s1
	s_mul_i32 s1, s39, s1
	s_add_u32 s1, s33, s1
	s_mul_hi_u32 s40, s39, s9
	s_addc_u32 s1, s25, s41
	s_addc_u32 s25, s40, 0
	s_mul_i32 s9, s39, s9
	s_add_u32 s1, s1, s9
	s_addc_u32 s9, 0, s25
	s_mul_i32 s25, s20, s9
	s_mul_hi_u32 s33, s20, s1
	s_add_i32 s25, s33, s25
	s_mul_i32 s33, s21, s1
	s_add_i32 s25, s25, s33
	s_sub_i32 s33, s39, s25
	s_mul_i32 s40, s20, s1
	s_sub_u32 s38, s38, s40
	s_cselect_b64 s[40:41], -1, 0
	s_cmp_lg_u64 s[40:41], 0
	s_subb_u32 s33, s33, s21
	s_sub_u32 s44, s38, s20
	s_cselect_b64 s[42:43], -1, 0
	s_cmp_lg_u64 s[42:43], 0
	s_subb_u32 s33, s33, 0
	s_cmp_ge_u32 s33, s21
	s_cselect_b32 s42, -1, 0
	s_cmp_ge_u32 s44, s20
	s_cselect_b32 s43, -1, 0
	s_cmp_eq_u32 s33, s21
	s_cselect_b32 s33, s43, s42
	s_add_u32 s42, s1, 1
	s_addc_u32 s43, s9, 0
	s_add_u32 s44, s1, 2
	s_addc_u32 s45, s9, 0
	s_cmp_lg_u32 s33, 0
	s_cselect_b32 s33, s44, s42
	s_cselect_b32 s42, s45, s43
	s_cmp_lg_u64 s[40:41], 0
	s_subb_u32 s25, s39, s25
	s_cmp_ge_u32 s25, s21
	s_cselect_b32 s39, -1, 0
	s_cmp_ge_u32 s38, s20
	s_cselect_b32 s20, -1, 0
	s_cmp_eq_u32 s25, s21
	s_cselect_b32 s20, s20, s39
	s_cmp_lg_u32 s20, 0
	s_cselect_b32 s21, s42, s9
	s_cselect_b32 s20, s33, s1
	s_xor_b64 s[12:13], s[22:23], s[12:13]
	s_xor_b64 s[20:21], s[20:21], s[12:13]
	s_sub_u32 s12, s20, s12
	s_subb_u32 s13, s21, s13
	s_load_dwordx4 s[20:23], s[4:5], 0x40
	v_cvt_f32_u32_e32 v1, s10
	s_cbranch_execnz .LBB1_3
.LBB1_2:
	v_rcp_iflag_f32_e32 v2, v1
	s_sub_i32 s1, 0, s10
	s_mov_b32 s13, 0
	v_mul_f32_e32 v2, 0x4f7ffffe, v2
	v_cvt_u32_f32_e32 v2, v2
	v_readfirstlane_b32 s4, v2
	s_mul_i32 s1, s1, s4
	s_mul_hi_u32 s1, s4, s1
	s_add_i32 s4, s4, s1
	s_mul_hi_u32 s1, s24, s4
	s_mul_i32 s5, s1, s10
	s_sub_i32 s5, s24, s5
	s_add_i32 s4, s1, 1
	s_sub_i32 s9, s5, s10
	s_cmp_ge_u32 s5, s10
	s_cselect_b32 s1, s4, s1
	s_cselect_b32 s5, s9, s5
	s_add_i32 s4, s1, 1
	s_cmp_ge_u32 s5, s10
	s_cselect_b32 s12, s4, s1
.LBB1_3:
	s_add_u32 s18, s18, s28
	s_load_dwordx2 s[24:25], s[30:31], 0x0
	s_load_dwordx2 s[4:5], s[34:35], 0x0
	;; [unrolled: 1-line block ×3, first 2 shown]
	s_addc_u32 s19, s19, s29
	s_load_dwordx2 s[18:19], s[18:19], 0x0
	s_or_b64 s[28:29], s[2:3], s[10:11]
	s_mov_b32 s28, 0
	s_cmp_lg_u64 s[28:29], 0
	s_cbranch_scc0 .LBB1_27
; %bb.4:
	s_ashr_i32 s28, s11, 31
	s_add_u32 s30, s10, s28
	s_mov_b32 s29, s28
	s_addc_u32 s31, s11, s28
	s_xor_b64 s[34:35], s[30:31], s[28:29]
	v_cvt_f32_u32_e32 v2, s34
	v_cvt_f32_u32_e32 v3, s35
	s_sub_u32 s1, 0, s34
	s_subb_u32 s9, 0, s35
	v_madmk_f32 v2, v3, 0x4f800000, v2
	v_rcp_f32_e32 v2, v2
	v_mul_f32_e32 v2, 0x5f7ffffc, v2
	v_mul_f32_e32 v3, 0x2f800000, v2
	v_trunc_f32_e32 v3, v3
	v_madmk_f32 v2, v3, 0xcf800000, v2
	v_cvt_u32_f32_e32 v3, v3
	v_cvt_u32_f32_e32 v2, v2
	v_readfirstlane_b32 s11, v3
	v_readfirstlane_b32 s33, v2
	s_mul_i32 s36, s1, s11
	s_mul_hi_u32 s38, s1, s33
	s_mul_i32 s37, s9, s33
	s_add_i32 s36, s38, s36
	s_add_i32 s36, s36, s37
	s_mul_i32 s39, s1, s33
	s_mul_i32 s38, s33, s36
	s_mul_hi_u32 s40, s33, s39
	s_mul_hi_u32 s37, s33, s36
	s_add_u32 s38, s40, s38
	s_addc_u32 s37, 0, s37
	s_mul_hi_u32 s41, s11, s39
	s_mul_i32 s39, s11, s39
	s_add_u32 s38, s38, s39
	s_mul_hi_u32 s40, s11, s36
	s_addc_u32 s37, s37, s41
	s_addc_u32 s38, s40, 0
	s_mul_i32 s36, s11, s36
	s_add_u32 s36, s37, s36
	s_addc_u32 s38, 0, s38
	s_add_u32 s33, s33, s36
	s_cselect_b64 s[36:37], -1, 0
	s_cmp_lg_u64 s[36:37], 0
	s_addc_u32 s11, s11, s38
	s_mul_i32 s36, s1, s11
	s_mul_hi_u32 s37, s1, s33
	s_add_i32 s36, s37, s36
	s_mul_i32 s9, s9, s33
	s_add_i32 s36, s36, s9
	s_mul_i32 s1, s1, s33
	s_mul_hi_u32 s37, s11, s1
	s_mul_i32 s38, s11, s1
	s_mul_i32 s40, s33, s36
	s_mul_hi_u32 s1, s33, s1
	s_mul_hi_u32 s39, s33, s36
	s_add_u32 s1, s1, s40
	s_addc_u32 s39, 0, s39
	s_add_u32 s1, s1, s38
	s_mul_hi_u32 s9, s11, s36
	s_addc_u32 s1, s39, s37
	s_addc_u32 s9, s9, 0
	s_mul_i32 s36, s11, s36
	s_add_u32 s1, s1, s36
	s_addc_u32 s9, 0, s9
	s_add_u32 s1, s33, s1
	s_cselect_b64 s[36:37], -1, 0
	s_cmp_lg_u64 s[36:37], 0
	s_addc_u32 s9, s11, s9
	s_ashr_i32 s36, s3, 31
	s_add_u32 s38, s2, s36
	s_mov_b32 s37, s36
	s_addc_u32 s39, s3, s36
	s_xor_b64 s[38:39], s[38:39], s[36:37]
	s_mul_i32 s33, s38, s9
	s_mul_hi_u32 s40, s38, s1
	s_mul_hi_u32 s11, s38, s9
	s_add_u32 s33, s40, s33
	s_addc_u32 s11, 0, s11
	s_mul_hi_u32 s41, s39, s1
	s_mul_i32 s1, s39, s1
	s_add_u32 s1, s33, s1
	s_mul_hi_u32 s40, s39, s9
	s_addc_u32 s1, s11, s41
	s_addc_u32 s11, s40, 0
	s_mul_i32 s9, s39, s9
	s_add_u32 s1, s1, s9
	s_addc_u32 s9, 0, s11
	s_mul_i32 s11, s34, s9
	s_mul_hi_u32 s33, s34, s1
	s_add_i32 s11, s33, s11
	s_mul_i32 s33, s35, s1
	s_add_i32 s11, s11, s33
	s_sub_i32 s33, s39, s11
	s_mul_i32 s40, s34, s1
	s_sub_u32 s38, s38, s40
	s_cselect_b64 s[40:41], -1, 0
	s_cmp_lg_u64 s[40:41], 0
	s_subb_u32 s33, s33, s35
	s_sub_u32 s44, s38, s34
	s_cselect_b64 s[42:43], -1, 0
	s_cmp_lg_u64 s[42:43], 0
	s_subb_u32 s33, s33, 0
	s_cmp_ge_u32 s33, s35
	s_cselect_b32 s42, -1, 0
	s_cmp_ge_u32 s44, s34
	s_cselect_b32 s43, -1, 0
	s_cmp_eq_u32 s33, s35
	s_cselect_b32 s33, s43, s42
	s_add_u32 s42, s1, 1
	s_addc_u32 s43, s9, 0
	s_add_u32 s44, s1, 2
	s_addc_u32 s45, s9, 0
	s_cmp_lg_u32 s33, 0
	s_cselect_b32 s33, s44, s42
	s_cselect_b32 s42, s45, s43
	s_cmp_lg_u64 s[40:41], 0
	s_subb_u32 s11, s39, s11
	s_cmp_ge_u32 s11, s35
	s_cselect_b32 s39, -1, 0
	s_cmp_ge_u32 s38, s34
	s_cselect_b32 s34, -1, 0
	s_cmp_eq_u32 s11, s35
	s_cselect_b32 s11, s34, s39
	s_cmp_lg_u32 s11, 0
	s_cselect_b32 s35, s42, s9
	s_cselect_b32 s34, s33, s1
	s_xor_b64 s[28:29], s[36:37], s[28:29]
	s_xor_b64 s[34:35], s[34:35], s[28:29]
	s_sub_u32 s34, s34, s28
	s_subb_u32 s35, s35, s29
	s_load_dwordx2 s[28:29], s[16:17], 0x0
	s_cbranch_execnz .LBB1_6
.LBB1_5:
	v_rcp_iflag_f32_e32 v1, v1
	s_sub_i32 s1, 0, s10
	s_mov_b32 s35, 0
	v_mul_f32_e32 v1, 0x4f7ffffe, v1
	v_cvt_u32_f32_e32 v1, v1
	v_readfirstlane_b32 s9, v1
	s_mul_i32 s1, s1, s9
	s_mul_hi_u32 s1, s9, s1
	s_add_i32 s9, s9, s1
	s_mul_hi_u32 s1, s2, s9
	s_mul_i32 s11, s1, s10
	s_sub_i32 s11, s2, s11
	s_add_i32 s9, s1, 1
	s_sub_i32 s16, s11, s10
	s_cmp_ge_u32 s11, s10
	s_cselect_b32 s1, s9, s1
	s_cselect_b32 s11, s16, s11
	s_add_i32 s9, s1, 1
	s_cmp_ge_u32 s11, s10
	s_cselect_b32 s34, s9, s1
.LBB1_6:
	s_waitcnt lgkmcnt(0)
	s_mul_i32 s1, s27, s8
	s_mul_hi_u32 s9, s26, s8
	s_add_i32 s41, s9, s1
	s_mul_i32 s42, s26, s8
	s_add_u32 s1, s4, s42
	s_addc_u32 s9, s5, s41
	s_add_u32 s31, s1, s12
	s_addc_u32 s36, s9, s13
	s_mul_i32 s1, s21, s8
	s_mul_hi_u32 s9, s20, s8
	s_add_i32 s37, s9, s1
	s_mul_i32 s38, s20, s8
	s_add_u32 s1, s14, s38
	s_mul_i32 s9, s23, s0
	s_mul_hi_u32 s10, s22, s0
	s_addc_u32 s8, s15, s37
	s_add_i32 s39, s10, s9
	s_mul_i32 s40, s22, s0
	s_add_u32 s0, s1, s40
	s_addc_u32 s1, s8, s39
	s_add_u32 s30, s0, s18
	s_addc_u32 s33, s1, s19
	s_sub_u32 s0, s6, s24
	s_subb_u32 s1, 0, s25
	s_lshl_b64 s[8:9], s[28:29], 7
	s_lshl_b64 s[0:1], s[0:1], 7
	s_sub_u32 s10, s26, s12
	s_subb_u32 s11, s27, s13
	v_cmp_gt_i64_e64 s[16:17], s[10:11], 0
	v_mov_b32_e32 v3, s1
	s_and_b64 s[16:17], s[16:17], exec
	s_cselect_b32 s11, s11, 0
	s_cselect_b32 s10, s10, 0
	v_mov_b32_e32 v1, s10
	v_mov_b32_e32 v2, s11
	v_cmp_lt_i64_e32 vcc, s[34:35], v[1:2]
	v_add_co_u32_e64 v1, s[0:1], s0, v0
	v_addc_co_u32_e64 v2, s[0:1], 0, v3, s[0:1]
	v_mov_b32_e32 v3, s8
	v_mov_b32_e32 v4, s9
	s_and_b64 s[0:1], vcc, exec
	v_cmp_ge_i64_e32 vcc, s[2:3], v[3:4]
	s_cselect_b32 s11, s35, s11
	s_cselect_b32 s10, s34, s10
	s_mov_b64 s[0:1], -1
	s_cbranch_vccz .LBB1_20
; %bb.7:
	s_add_u32 s0, s30, 15
	s_addc_u32 s1, s33, 0
	s_ashr_i32 s16, s1, 31
	s_lshr_b32 s16, s16, 28
	s_add_u32 s16, s0, s16
	s_addc_u32 s0, s1, 0
	s_and_b32 s1, s16, -16
	s_sub_u32 s20, s1, s30
	s_subb_u32 s21, s0, s33
	s_sub_u32 s16, s10, s20
	s_subb_u32 s17, s11, s21
	s_ashr_i32 s22, s17, 31
	s_lshr_b32 s22, s22, 28
	s_add_u32 s16, s16, s22
	v_lshlrev_b64 v[5:6], 4, v[1:2]
	s_addc_u32 s23, s17, 0
	s_and_b32 s22, s16, -16
	s_add_u32 s16, s22, s20
	v_cmp_gt_i64_e32 vcc, s[22:23], v[5:6]
	s_addc_u32 s17, s23, s21
	s_and_saveexec_b64 s[22:23], vcc
	s_cbranch_execz .LBB1_10
; %bb.8:
	s_lshl_b64 s[26:27], s[28:29], 11
	s_add_u32 s12, s12, s42
	s_addc_u32 s13, s13, s41
	s_lshl_b64 s[6:7], s[6:7], 11
	s_add_u32 s6, s12, s6
	s_addc_u32 s7, s13, s7
	v_mov_b32_e32 v4, s21
	v_add_co_u32_e32 v3, vcc, s20, v5
	s_add_u32 s6, s6, s1
	v_addc_co_u32_e32 v4, vcc, v4, v6, vcc
	s_addc_u32 s7, s7, s0
	v_lshlrev_b32_e32 v0, 4, v0
	v_mov_b32_e32 v7, s7
	v_add_co_u32_e32 v0, vcc, s6, v0
	v_addc_co_u32_e32 v7, vcc, 0, v7, vcc
	v_mov_b32_e32 v8, s33
	v_subrev_co_u32_e32 v0, vcc, s30, v0
	v_subb_co_u32_e32 v7, vcc, v7, v8, vcc
	s_lshl_b64 s[6:7], s[24:25], 11
	v_mov_b32_e32 v8, s7
	v_subrev_co_u32_e32 v0, vcc, s6, v0
	v_subb_co_u32_e32 v7, vcc, v7, v8, vcc
	v_add_co_u32_e32 v0, vcc, s4, v0
	s_add_u32 s4, s18, s40
	v_mov_b32_e32 v8, s5
	s_addc_u32 s5, s19, s39
	s_add_u32 s4, s4, s38
	s_addc_u32 s5, s5, s37
	s_add_u32 s1, s4, s1
	v_addc_co_u32_e32 v7, vcc, v8, v7, vcc
	s_addc_u32 s0, s5, s0
	v_mov_b32_e32 v8, s0
	v_add_co_u32_e32 v5, vcc, s1, v5
	v_addc_co_u32_e32 v6, vcc, v8, v6, vcc
	v_mov_b32_e32 v8, s33
	v_subrev_co_u32_e32 v5, vcc, s30, v5
	v_subb_co_u32_e32 v6, vcc, v6, v8, vcc
	v_mov_b32_e32 v8, s15
	v_add_co_u32_e32 v5, vcc, s14, v5
	v_addc_co_u32_e32 v6, vcc, v8, v6, vcc
	v_add_co_u32_e32 v5, vcc, 8, v5
	v_addc_co_u32_e32 v6, vcc, 0, v6, vcc
	s_mov_b64 s[4:5], 0
	v_mov_b32_e32 v8, s27
	s_mov_b64 s[6:7], 0
.LBB1_9:                                ; =>This Inner Loop Header: Depth=1
	v_mov_b32_e32 v14, s7
	v_add_co_u32_e32 v9, vcc, s6, v0
	v_addc_co_u32_e32 v10, vcc, v7, v14, vcc
	flat_load_dwordx4 v[9:12], v[9:10]
	v_add_co_u32_e32 v13, vcc, s6, v5
	v_add_co_u32_e64 v3, s[0:1], s26, v3
	v_addc_co_u32_e64 v4, s[0:1], v4, v8, s[0:1]
	v_addc_co_u32_e32 v14, vcc, v6, v14, vcc
	s_add_u32 s6, s6, s26
	v_cmp_le_i64_e32 vcc, s[16:17], v[3:4]
	s_addc_u32 s7, s7, s27
	s_or_b64 s[4:5], vcc, s[4:5]
	s_waitcnt vmcnt(0) lgkmcnt(0)
	global_store_dwordx4 v[13:14], v[9:12], off offset:-8
	s_andn2_b64 exec, exec, s[4:5]
	s_cbranch_execnz .LBB1_9
.LBB1_10:
	s_or_b64 exec, exec, s[22:23]
	v_cmp_gt_i64_e32 vcc, s[20:21], v[1:2]
	v_cmp_gt_i64_e64 s[0:1], s[2:3], v[1:2]
	s_and_b64 s[4:5], s[0:1], vcc
	s_and_saveexec_b64 s[0:1], s[4:5]
	s_cbranch_execz .LBB1_14
; %bb.11:
	v_cmp_gt_i64_e32 vcc, s[10:11], v[1:2]
	v_mov_b32_e32 v0, 0
	s_and_saveexec_b64 s[4:5], vcc
	s_cbranch_execz .LBB1_13
; %bb.12:
	v_mov_b32_e32 v0, s36
	v_add_co_u32_e32 v3, vcc, s31, v1
	v_addc_co_u32_e32 v4, vcc, v0, v2, vcc
	flat_load_ubyte v0, v[3:4]
.LBB1_13:
	s_or_b64 exec, exec, s[4:5]
	v_mov_b32_e32 v4, s33
	v_add_co_u32_e32 v3, vcc, s30, v1
	v_addc_co_u32_e32 v4, vcc, v4, v2, vcc
	s_waitcnt vmcnt(0) lgkmcnt(0)
	global_store_byte v[3:4], v0, off
.LBB1_14:
	s_or_b64 exec, exec, s[0:1]
	v_mov_b32_e32 v0, s17
	v_add_co_u32_e32 v3, vcc, s16, v1
	v_addc_co_u32_e32 v4, vcc, v0, v2, vcc
	v_cmp_gt_i64_e32 vcc, s[2:3], v[3:4]
	s_and_saveexec_b64 s[0:1], vcc
	s_cbranch_execz .LBB1_19
; %bb.15:
	s_mov_b64 s[4:5], 0
	v_mov_b32_e32 v0, s33
	s_branch .LBB1_17
.LBB1_16:                               ;   in Loop: Header=BB1_17 Depth=1
	s_or_b64 exec, exec, s[6:7]
	v_add_co_u32_e32 v6, vcc, s30, v3
	s_add_u32 s16, s16, s8
	v_addc_co_u32_e32 v7, vcc, v0, v4, vcc
	s_addc_u32 s17, s17, s9
	v_mov_b32_e32 v4, s17
	v_add_co_u32_e32 v3, vcc, s16, v1
	v_addc_co_u32_e32 v4, vcc, v4, v2, vcc
	v_cmp_le_i64_e32 vcc, s[2:3], v[3:4]
	s_waitcnt vmcnt(0) lgkmcnt(0)
	global_store_byte v[6:7], v5, off
	s_or_b64 s[4:5], vcc, s[4:5]
	s_andn2_b64 exec, exec, s[4:5]
	s_cbranch_execz .LBB1_19
.LBB1_17:                               ; =>This Inner Loop Header: Depth=1
	v_cmp_gt_i64_e32 vcc, s[10:11], v[3:4]
	v_mov_b32_e32 v5, 0
	s_and_saveexec_b64 s[6:7], vcc
	s_cbranch_execz .LBB1_16
; %bb.18:                               ;   in Loop: Header=BB1_17 Depth=1
	v_mov_b32_e32 v6, s36
	v_add_co_u32_e32 v5, vcc, s31, v3
	v_addc_co_u32_e32 v6, vcc, v6, v4, vcc
	flat_load_ubyte v5, v[5:6]
	s_branch .LBB1_16
.LBB1_19:
	s_or_b64 exec, exec, s[0:1]
	s_mov_b64 s[0:1], 0
.LBB1_20:
	s_and_b64 vcc, exec, s[0:1]
	s_cbranch_vccz .LBB1_25
; %bb.21:
	v_cmp_gt_i64_e32 vcc, s[10:11], v[1:2]
	v_mov_b32_e32 v0, 0
	s_and_saveexec_b64 s[0:1], vcc
	s_cbranch_execz .LBB1_23
; %bb.22:
	v_mov_b32_e32 v0, s36
	v_add_co_u32_e32 v3, vcc, s31, v1
	v_addc_co_u32_e32 v4, vcc, v0, v2, vcc
	flat_load_ubyte v0, v[3:4]
.LBB1_23:
	s_or_b64 exec, exec, s[0:1]
	v_cmp_gt_i64_e32 vcc, s[2:3], v[1:2]
	s_and_saveexec_b64 s[0:1], vcc
	s_cbranch_execz .LBB1_25
; %bb.24:
	v_mov_b32_e32 v3, s33
	v_add_co_u32_e32 v1, vcc, s30, v1
	v_addc_co_u32_e32 v2, vcc, v3, v2, vcc
	s_waitcnt vmcnt(0) lgkmcnt(0)
	global_store_byte v[1:2], v0, off
.LBB1_25:
	s_endpgm
.LBB1_26:
                                        ; implicit-def: $sgpr12_sgpr13
	s_load_dwordx4 s[20:23], s[4:5], 0x40
	v_cvt_f32_u32_e32 v1, s10
	s_branch .LBB1_2
.LBB1_27:
                                        ; implicit-def: $sgpr34_sgpr35
	s_load_dwordx2 s[28:29], s[16:17], 0x0
	s_branch .LBB1_5
	.section	.rodata,"a",@progbits
	.p2align	6, 0x0
	.amdhsa_kernel _ZN2at6native6detailL21chunk_cat_cuda_kernelIccEEvPPT0_PT_PlS8_S8_S8_S8_S8_lll
		.amdhsa_group_segment_fixed_size 0
		.amdhsa_private_segment_fixed_size 0
		.amdhsa_kernarg_size 88
		.amdhsa_user_sgpr_count 6
		.amdhsa_user_sgpr_private_segment_buffer 1
		.amdhsa_user_sgpr_dispatch_ptr 0
		.amdhsa_user_sgpr_queue_ptr 0
		.amdhsa_user_sgpr_kernarg_segment_ptr 1
		.amdhsa_user_sgpr_dispatch_id 0
		.amdhsa_user_sgpr_flat_scratch_init 0
		.amdhsa_user_sgpr_private_segment_size 0
		.amdhsa_uses_dynamic_stack 0
		.amdhsa_system_sgpr_private_segment_wavefront_offset 0
		.amdhsa_system_sgpr_workgroup_id_x 1
		.amdhsa_system_sgpr_workgroup_id_y 1
		.amdhsa_system_sgpr_workgroup_id_z 1
		.amdhsa_system_sgpr_workgroup_info 0
		.amdhsa_system_vgpr_workitem_id 0
		.amdhsa_next_free_vgpr 15
		.amdhsa_next_free_sgpr 46
		.amdhsa_reserve_vcc 1
		.amdhsa_reserve_flat_scratch 0
		.amdhsa_float_round_mode_32 0
		.amdhsa_float_round_mode_16_64 0
		.amdhsa_float_denorm_mode_32 3
		.amdhsa_float_denorm_mode_16_64 3
		.amdhsa_dx10_clamp 1
		.amdhsa_ieee_mode 1
		.amdhsa_fp16_overflow 0
		.amdhsa_exception_fp_ieee_invalid_op 0
		.amdhsa_exception_fp_denorm_src 0
		.amdhsa_exception_fp_ieee_div_zero 0
		.amdhsa_exception_fp_ieee_overflow 0
		.amdhsa_exception_fp_ieee_underflow 0
		.amdhsa_exception_fp_ieee_inexact 0
		.amdhsa_exception_int_div_zero 0
	.end_amdhsa_kernel
	.section	.text._ZN2at6native6detailL21chunk_cat_cuda_kernelIccEEvPPT0_PT_PlS8_S8_S8_S8_S8_lll,"axG",@progbits,_ZN2at6native6detailL21chunk_cat_cuda_kernelIccEEvPPT0_PT_PlS8_S8_S8_S8_S8_lll,comdat
.Lfunc_end1:
	.size	_ZN2at6native6detailL21chunk_cat_cuda_kernelIccEEvPPT0_PT_PlS8_S8_S8_S8_S8_lll, .Lfunc_end1-_ZN2at6native6detailL21chunk_cat_cuda_kernelIccEEvPPT0_PT_PlS8_S8_S8_S8_S8_lll
                                        ; -- End function
	.set _ZN2at6native6detailL21chunk_cat_cuda_kernelIccEEvPPT0_PT_PlS8_S8_S8_S8_S8_lll.num_vgpr, 15
	.set _ZN2at6native6detailL21chunk_cat_cuda_kernelIccEEvPPT0_PT_PlS8_S8_S8_S8_S8_lll.num_agpr, 0
	.set _ZN2at6native6detailL21chunk_cat_cuda_kernelIccEEvPPT0_PT_PlS8_S8_S8_S8_S8_lll.numbered_sgpr, 46
	.set _ZN2at6native6detailL21chunk_cat_cuda_kernelIccEEvPPT0_PT_PlS8_S8_S8_S8_S8_lll.num_named_barrier, 0
	.set _ZN2at6native6detailL21chunk_cat_cuda_kernelIccEEvPPT0_PT_PlS8_S8_S8_S8_S8_lll.private_seg_size, 0
	.set _ZN2at6native6detailL21chunk_cat_cuda_kernelIccEEvPPT0_PT_PlS8_S8_S8_S8_S8_lll.uses_vcc, 1
	.set _ZN2at6native6detailL21chunk_cat_cuda_kernelIccEEvPPT0_PT_PlS8_S8_S8_S8_S8_lll.uses_flat_scratch, 0
	.set _ZN2at6native6detailL21chunk_cat_cuda_kernelIccEEvPPT0_PT_PlS8_S8_S8_S8_S8_lll.has_dyn_sized_stack, 0
	.set _ZN2at6native6detailL21chunk_cat_cuda_kernelIccEEvPPT0_PT_PlS8_S8_S8_S8_S8_lll.has_recursion, 0
	.set _ZN2at6native6detailL21chunk_cat_cuda_kernelIccEEvPPT0_PT_PlS8_S8_S8_S8_S8_lll.has_indirect_call, 0
	.section	.AMDGPU.csdata,"",@progbits
; Kernel info:
; codeLenInByte = 2380
; TotalNumSgprs: 50
; NumVgprs: 15
; ScratchSize: 0
; MemoryBound: 0
; FloatMode: 240
; IeeeMode: 1
; LDSByteSize: 0 bytes/workgroup (compile time only)
; SGPRBlocks: 6
; VGPRBlocks: 3
; NumSGPRsForWavesPerEU: 50
; NumVGPRsForWavesPerEU: 15
; Occupancy: 10
; WaveLimiterHint : 1
; COMPUTE_PGM_RSRC2:SCRATCH_EN: 0
; COMPUTE_PGM_RSRC2:USER_SGPR: 6
; COMPUTE_PGM_RSRC2:TRAP_HANDLER: 0
; COMPUTE_PGM_RSRC2:TGID_X_EN: 1
; COMPUTE_PGM_RSRC2:TGID_Y_EN: 1
; COMPUTE_PGM_RSRC2:TGID_Z_EN: 1
; COMPUTE_PGM_RSRC2:TIDIG_COMP_CNT: 0
	.section	.text._ZN2at6native6detailL21chunk_cat_cuda_kernelIfN3c108BFloat16EEEvPPT0_PT_PlSA_SA_SA_SA_SA_lll,"axG",@progbits,_ZN2at6native6detailL21chunk_cat_cuda_kernelIfN3c108BFloat16EEEvPPT0_PT_PlSA_SA_SA_SA_SA_lll,comdat
	.globl	_ZN2at6native6detailL21chunk_cat_cuda_kernelIfN3c108BFloat16EEEvPPT0_PT_PlSA_SA_SA_SA_SA_lll ; -- Begin function _ZN2at6native6detailL21chunk_cat_cuda_kernelIfN3c108BFloat16EEEvPPT0_PT_PlSA_SA_SA_SA_SA_lll
	.p2align	8
	.type	_ZN2at6native6detailL21chunk_cat_cuda_kernelIfN3c108BFloat16EEEvPPT0_PT_PlSA_SA_SA_SA_SA_lll,@function
_ZN2at6native6detailL21chunk_cat_cuda_kernelIfN3c108BFloat16EEEvPPT0_PT_PlSA_SA_SA_SA_SA_lll: ; @_ZN2at6native6detailL21chunk_cat_cuda_kernelIfN3c108BFloat16EEEvPPT0_PT_PlSA_SA_SA_SA_SA_lll
; %bb.0:
	s_load_dwordx16 s[12:27], s[4:5], 0x0
	s_mov_b32 s0, s7
	s_mov_b32 s7, 0
	s_lshl_b64 s[2:3], s[6:7], 3
	s_waitcnt lgkmcnt(0)
	s_add_u32 s2, s16, s2
	s_addc_u32 s3, s17, s3
	s_load_dwordx2 s[2:3], s[2:3], 0x0
	s_waitcnt lgkmcnt(0)
	s_lshl_b64 s[28:29], s[2:3], 3
	s_add_u32 s30, s20, s28
	s_addc_u32 s31, s21, s29
	s_add_u32 s16, s26, s28
	s_addc_u32 s17, s27, s29
	;; [unrolled: 2-line block ×5, first 2 shown]
	s_load_dwordx2 s[2:3], s[20:21], 0x0
	s_load_dwordx2 s[12:13], s[4:5], 0x50
	s_waitcnt lgkmcnt(0)
	s_mul_i32 s1, s3, s0
	s_mul_hi_u32 s9, s2, s0
	s_add_i32 s35, s9, s1
	s_mul_i32 s34, s2, s0
	s_or_b64 s[20:21], s[34:35], s[12:13]
	s_mov_b32 s20, s7
	s_cmp_lg_u64 s[20:21], 0
	s_cbranch_scc0 .LBB2_14
; %bb.1:
	s_ashr_i32 s20, s13, 31
	s_add_u32 s22, s12, s20
	s_mov_b32 s21, s20
	s_addc_u32 s23, s13, s20
	s_xor_b64 s[22:23], s[22:23], s[20:21]
	v_cvt_f32_u32_e32 v1, s22
	v_cvt_f32_u32_e32 v2, s23
	s_sub_u32 s1, 0, s22
	s_subb_u32 s7, 0, s23
	v_madmk_f32 v1, v2, 0x4f800000, v1
	v_rcp_f32_e32 v1, v1
	v_mul_f32_e32 v1, 0x5f7ffffc, v1
	v_mul_f32_e32 v2, 0x2f800000, v1
	v_trunc_f32_e32 v2, v2
	v_madmk_f32 v1, v2, 0xcf800000, v1
	v_cvt_u32_f32_e32 v2, v2
	v_cvt_u32_f32_e32 v1, v1
	v_readfirstlane_b32 s9, v2
	v_readfirstlane_b32 s24, v1
	s_mul_i32 s25, s1, s9
	s_mul_hi_u32 s38, s1, s24
	s_mul_i32 s33, s7, s24
	s_add_i32 s25, s38, s25
	s_add_i32 s25, s25, s33
	s_mul_i32 s39, s1, s24
	s_mul_i32 s38, s24, s25
	s_mul_hi_u32 s40, s24, s39
	s_mul_hi_u32 s33, s24, s25
	s_add_u32 s38, s40, s38
	s_addc_u32 s33, 0, s33
	s_mul_hi_u32 s41, s9, s39
	s_mul_i32 s39, s9, s39
	s_add_u32 s38, s38, s39
	s_mul_hi_u32 s40, s9, s25
	s_addc_u32 s33, s33, s41
	s_addc_u32 s38, s40, 0
	s_mul_i32 s25, s9, s25
	s_add_u32 s25, s33, s25
	s_addc_u32 s33, 0, s38
	s_add_u32 s38, s24, s25
	s_cselect_b64 s[24:25], -1, 0
	s_cmp_lg_u64 s[24:25], 0
	s_addc_u32 s9, s9, s33
	s_mul_i32 s24, s1, s9
	s_mul_hi_u32 s25, s1, s38
	s_add_i32 s24, s25, s24
	s_mul_i32 s7, s7, s38
	s_add_i32 s24, s24, s7
	s_mul_i32 s1, s1, s38
	s_mul_hi_u32 s25, s9, s1
	s_mul_i32 s33, s9, s1
	s_mul_i32 s40, s38, s24
	s_mul_hi_u32 s1, s38, s1
	s_mul_hi_u32 s39, s38, s24
	s_add_u32 s1, s1, s40
	s_addc_u32 s39, 0, s39
	s_add_u32 s1, s1, s33
	s_mul_hi_u32 s7, s9, s24
	s_addc_u32 s1, s39, s25
	s_addc_u32 s7, s7, 0
	s_mul_i32 s24, s9, s24
	s_add_u32 s1, s1, s24
	s_addc_u32 s7, 0, s7
	s_add_u32 s1, s38, s1
	s_cselect_b64 s[24:25], -1, 0
	s_cmp_lg_u64 s[24:25], 0
	s_addc_u32 s7, s9, s7
	s_ashr_i32 s24, s35, 31
	s_add_u32 s38, s34, s24
	s_mov_b32 s25, s24
	s_addc_u32 s39, s35, s24
	s_xor_b64 s[38:39], s[38:39], s[24:25]
	s_mul_i32 s33, s38, s7
	s_mul_hi_u32 s35, s38, s1
	s_mul_hi_u32 s9, s38, s7
	s_add_u32 s33, s35, s33
	s_addc_u32 s9, 0, s9
	s_mul_hi_u32 s40, s39, s1
	s_mul_i32 s1, s39, s1
	s_add_u32 s1, s33, s1
	s_mul_hi_u32 s35, s39, s7
	s_addc_u32 s1, s9, s40
	s_addc_u32 s9, s35, 0
	s_mul_i32 s7, s39, s7
	s_add_u32 s1, s1, s7
	s_addc_u32 s7, 0, s9
	s_mul_i32 s9, s22, s7
	s_mul_hi_u32 s33, s22, s1
	s_add_i32 s9, s33, s9
	s_mul_i32 s33, s23, s1
	s_add_i32 s9, s9, s33
	s_sub_i32 s33, s39, s9
	s_mul_i32 s35, s22, s1
	s_sub_u32 s35, s38, s35
	s_cselect_b64 s[40:41], -1, 0
	s_cmp_lg_u64 s[40:41], 0
	s_subb_u32 s33, s33, s23
	s_sub_u32 s38, s35, s22
	s_cselect_b64 s[42:43], -1, 0
	s_cmp_lg_u64 s[42:43], 0
	s_subb_u32 s33, s33, 0
	s_cmp_ge_u32 s33, s23
	s_cselect_b32 s42, -1, 0
	s_cmp_ge_u32 s38, s22
	s_cselect_b32 s38, -1, 0
	s_cmp_eq_u32 s33, s23
	s_cselect_b32 s33, s38, s42
	s_add_u32 s38, s1, 1
	s_addc_u32 s42, s7, 0
	s_add_u32 s43, s1, 2
	s_addc_u32 s44, s7, 0
	s_cmp_lg_u32 s33, 0
	s_cselect_b32 s33, s43, s38
	s_cselect_b32 s38, s44, s42
	s_cmp_lg_u64 s[40:41], 0
	s_subb_u32 s9, s39, s9
	s_cmp_ge_u32 s9, s23
	s_cselect_b32 s39, -1, 0
	s_cmp_ge_u32 s35, s22
	s_cselect_b32 s22, -1, 0
	s_cmp_eq_u32 s9, s23
	s_cselect_b32 s9, s22, s39
	s_cmp_lg_u32 s9, 0
	s_cselect_b32 s23, s38, s7
	s_cselect_b32 s22, s33, s1
	s_xor_b64 s[20:21], s[24:25], s[20:21]
	s_xor_b64 s[22:23], s[22:23], s[20:21]
	s_sub_u32 s24, s22, s20
	s_subb_u32 s25, s23, s21
	s_load_dwordx4 s[20:23], s[4:5], 0x40
	v_cvt_f32_u32_e32 v1, s12
	s_cbranch_execnz .LBB2_3
.LBB2_2:
	v_rcp_iflag_f32_e32 v2, v1
	s_sub_i32 s1, 0, s12
	s_mov_b32 s25, 0
	v_mul_f32_e32 v2, 0x4f7ffffe, v2
	v_cvt_u32_f32_e32 v2, v2
	v_readfirstlane_b32 s4, v2
	s_mul_i32 s1, s1, s4
	s_mul_hi_u32 s1, s4, s1
	s_add_i32 s4, s4, s1
	s_mul_hi_u32 s1, s34, s4
	s_mul_i32 s5, s1, s12
	s_sub_i32 s5, s34, s5
	s_add_i32 s4, s1, 1
	s_sub_i32 s7, s5, s12
	s_cmp_ge_u32 s5, s12
	s_cselect_b32 s1, s4, s1
	s_cselect_b32 s5, s7, s5
	s_add_i32 s4, s1, 1
	s_cmp_ge_u32 s5, s12
	s_cselect_b32 s24, s4, s1
.LBB2_3:
	s_load_dwordx2 s[34:35], s[30:31], 0x0
	s_load_dwordx2 s[4:5], s[26:27], 0x0
	s_add_u32 s28, s18, s28
	s_addc_u32 s29, s19, s29
	s_or_b64 s[18:19], s[2:3], s[12:13]
	s_mov_b32 s18, 0
	s_cmp_lg_u64 s[18:19], 0
	s_cbranch_scc0 .LBB2_15
; %bb.4:
	s_ashr_i32 s18, s13, 31
	s_add_u32 s26, s12, s18
	s_mov_b32 s19, s18
	s_addc_u32 s27, s13, s18
	s_xor_b64 s[26:27], s[26:27], s[18:19]
	v_cvt_f32_u32_e32 v2, s26
	v_cvt_f32_u32_e32 v3, s27
	s_sub_u32 s1, 0, s26
	s_subb_u32 s7, 0, s27
	v_madmk_f32 v2, v3, 0x4f800000, v2
	v_rcp_f32_e32 v2, v2
	v_mul_f32_e32 v2, 0x5f7ffffc, v2
	v_mul_f32_e32 v3, 0x2f800000, v2
	v_trunc_f32_e32 v3, v3
	v_madmk_f32 v2, v3, 0xcf800000, v2
	v_cvt_u32_f32_e32 v3, v3
	v_cvt_u32_f32_e32 v2, v2
	v_readfirstlane_b32 s9, v3
	v_readfirstlane_b32 s13, v2
	s_mul_i32 s33, s1, s9
	s_mul_hi_u32 s37, s1, s13
	s_mul_i32 s36, s7, s13
	s_add_i32 s33, s37, s33
	s_add_i32 s33, s33, s36
	s_mul_i32 s38, s1, s13
	s_mul_i32 s37, s13, s33
	s_mul_hi_u32 s39, s13, s38
	s_mul_hi_u32 s36, s13, s33
	s_add_u32 s37, s39, s37
	s_addc_u32 s36, 0, s36
	s_mul_hi_u32 s40, s9, s38
	s_mul_i32 s38, s9, s38
	s_add_u32 s37, s37, s38
	s_mul_hi_u32 s39, s9, s33
	s_addc_u32 s36, s36, s40
	s_addc_u32 s37, s39, 0
	s_mul_i32 s33, s9, s33
	s_add_u32 s33, s36, s33
	s_addc_u32 s38, 0, s37
	s_add_u32 s13, s13, s33
	s_cselect_b64 s[36:37], -1, 0
	s_cmp_lg_u64 s[36:37], 0
	s_addc_u32 s9, s9, s38
	s_mul_i32 s33, s1, s9
	s_mul_hi_u32 s36, s1, s13
	s_add_i32 s33, s36, s33
	s_mul_i32 s7, s7, s13
	s_add_i32 s33, s33, s7
	s_mul_i32 s1, s1, s13
	s_mul_hi_u32 s36, s9, s1
	s_mul_i32 s37, s9, s1
	s_mul_i32 s39, s13, s33
	s_mul_hi_u32 s1, s13, s1
	s_mul_hi_u32 s38, s13, s33
	s_add_u32 s1, s1, s39
	s_addc_u32 s38, 0, s38
	s_add_u32 s1, s1, s37
	s_mul_hi_u32 s7, s9, s33
	s_addc_u32 s1, s38, s36
	s_addc_u32 s7, s7, 0
	s_mul_i32 s33, s9, s33
	s_add_u32 s1, s1, s33
	s_addc_u32 s7, 0, s7
	s_add_u32 s1, s13, s1
	s_cselect_b64 s[36:37], -1, 0
	s_cmp_lg_u64 s[36:37], 0
	s_addc_u32 s7, s9, s7
	s_ashr_i32 s36, s3, 31
	s_add_u32 s38, s2, s36
	s_mov_b32 s37, s36
	s_addc_u32 s39, s3, s36
	s_xor_b64 s[38:39], s[38:39], s[36:37]
	s_mul_i32 s13, s38, s7
	s_mul_hi_u32 s33, s38, s1
	s_mul_hi_u32 s9, s38, s7
	s_add_u32 s13, s33, s13
	s_addc_u32 s9, 0, s9
	s_mul_hi_u32 s40, s39, s1
	s_mul_i32 s1, s39, s1
	s_add_u32 s1, s13, s1
	s_mul_hi_u32 s33, s39, s7
	s_addc_u32 s1, s9, s40
	s_addc_u32 s9, s33, 0
	s_mul_i32 s7, s39, s7
	s_add_u32 s1, s1, s7
	s_addc_u32 s7, 0, s9
	s_mul_i32 s9, s26, s7
	s_mul_hi_u32 s13, s26, s1
	s_add_i32 s9, s13, s9
	s_mul_i32 s13, s27, s1
	s_add_i32 s9, s9, s13
	s_sub_i32 s13, s39, s9
	s_mul_i32 s33, s26, s1
	s_sub_u32 s33, s38, s33
	s_cselect_b64 s[40:41], -1, 0
	s_cmp_lg_u64 s[40:41], 0
	s_subb_u32 s13, s13, s27
	s_sub_u32 s38, s33, s26
	s_cselect_b64 s[42:43], -1, 0
	s_cmp_lg_u64 s[42:43], 0
	s_subb_u32 s13, s13, 0
	s_cmp_ge_u32 s13, s27
	s_cselect_b32 s42, -1, 0
	s_cmp_ge_u32 s38, s26
	s_cselect_b32 s38, -1, 0
	s_cmp_eq_u32 s13, s27
	s_cselect_b32 s13, s38, s42
	s_add_u32 s38, s1, 1
	s_addc_u32 s42, s7, 0
	s_add_u32 s43, s1, 2
	s_addc_u32 s44, s7, 0
	s_cmp_lg_u32 s13, 0
	s_cselect_b32 s13, s43, s38
	s_cselect_b32 s38, s44, s42
	s_cmp_lg_u64 s[40:41], 0
	s_subb_u32 s9, s39, s9
	s_cmp_ge_u32 s9, s27
	s_cselect_b32 s39, -1, 0
	s_cmp_ge_u32 s33, s26
	s_cselect_b32 s26, -1, 0
	s_cmp_eq_u32 s9, s27
	s_cselect_b32 s9, s26, s39
	s_cmp_lg_u32 s9, 0
	s_cselect_b32 s27, s38, s7
	s_cselect_b32 s26, s13, s1
	s_xor_b64 s[18:19], s[36:37], s[18:19]
	s_xor_b64 s[26:27], s[26:27], s[18:19]
	s_sub_u32 s36, s26, s18
	s_subb_u32 s37, s27, s19
	s_load_dwordx2 s[26:27], s[28:29], 0x0
	s_load_dwordx2 s[18:19], s[16:17], 0x0
	s_cbranch_execnz .LBB2_6
.LBB2_5:
	v_rcp_iflag_f32_e32 v1, v1
	s_sub_i32 s1, 0, s12
	s_mov_b32 s37, 0
	v_mul_f32_e32 v1, 0x4f7ffffe, v1
	v_cvt_u32_f32_e32 v1, v1
	v_readfirstlane_b32 s7, v1
	s_mul_i32 s1, s1, s7
	s_mul_hi_u32 s1, s7, s1
	s_add_i32 s7, s7, s1
	s_mul_hi_u32 s1, s2, s7
	s_mul_i32 s9, s1, s12
	s_sub_i32 s9, s2, s9
	s_add_i32 s7, s1, 1
	s_sub_i32 s13, s9, s12
	s_cmp_ge_u32 s9, s12
	s_cselect_b32 s1, s7, s1
	s_cselect_b32 s9, s13, s9
	s_add_i32 s7, s1, 1
	s_cmp_ge_u32 s9, s12
	s_cselect_b32 s36, s7, s1
.LBB2_6:
	s_waitcnt lgkmcnt(0)
	s_mul_i32 s1, s21, s8
	s_mul_hi_u32 s21, s20, s8
	s_add_i32 s21, s21, s1
	s_mul_i32 s1, s23, s0
	s_mul_hi_u32 s23, s22, s0
	s_add_i32 s23, s23, s1
	s_mul_i32 s22, s22, s0
	s_sub_u32 s0, s6, s34
	s_subb_u32 s1, 0, s35
	s_lshl_b64 s[6:7], s[18:19], 7
	s_lshl_b64 s[0:1], s[0:1], 7
	s_sub_u32 s12, s4, s24
	s_subb_u32 s13, s5, s25
	v_cmp_gt_i64_e64 s[16:17], s[12:13], 0
	v_mov_b32_e32 v3, s1
	s_and_b64 s[16:17], s[16:17], exec
	s_cselect_b32 s9, s13, 0
	s_cselect_b32 s12, s12, 0
	v_mov_b32_e32 v1, s12
	v_mov_b32_e32 v2, s9
	v_cmp_lt_i64_e32 vcc, s[36:37], v[1:2]
	v_add_co_u32_e64 v0, s[0:1], s0, v0
	v_addc_co_u32_e64 v1, s[0:1], 0, v3, s[0:1]
	s_and_b64 s[0:1], vcc, exec
	s_cselect_b32 s1, s37, s9
	s_cselect_b32 s0, s36, s12
	s_lshr_b64 s[12:13], s[0:1], 1
	v_cmp_gt_i64_e32 vcc, s[12:13], v[0:1]
	s_mul_i32 s20, s20, s8
	s_mov_b64 s[16:17], 0
	s_and_saveexec_b64 s[0:1], vcc
	s_cbranch_execz .LBB2_10
; %bb.7:
	s_mul_i32 s5, s5, s8
	s_mul_hi_u32 s9, s4, s8
	s_add_i32 s9, s9, s5
	s_mul_i32 s8, s4, s8
	s_add_u32 s4, s26, s22
	s_addc_u32 s5, s27, s23
	s_add_u32 s4, s4, s20
	s_addc_u32 s5, s5, s21
	s_load_dwordx2 s[10:11], s[10:11], 0x0
	v_lshlrev_b64 v[2:3], 2, v[0:1]
	s_add_u32 s4, s14, s4
	s_addc_u32 s5, s15, s5
	v_mov_b32_e32 v4, s5
	v_add_co_u32_e32 v2, vcc, s4, v2
	s_lshl_b64 s[4:5], s[18:19], 9
	s_add_u32 s8, s24, s8
	s_addc_u32 s9, s25, s9
	v_addc_co_u32_e32 v3, vcc, v4, v3, vcc
	v_lshlrev_b64 v[4:5], 1, v[0:1]
	s_waitcnt lgkmcnt(0)
	s_add_u32 s8, s10, s8
	s_addc_u32 s9, s11, s9
	v_mov_b32_e32 v6, s9
	v_add_co_u32_e32 v4, vcc, s8, v4
	s_lshl_b64 s[8:9], s[18:19], 8
	v_addc_co_u32_e32 v5, vcc, v6, v5, vcc
	v_mov_b32_e32 v6, s7
	v_mov_b32_e32 v7, s5
	;; [unrolled: 1-line block ×3, first 2 shown]
.LBB2_8:                                ; =>This Inner Loop Header: Depth=1
	flat_load_ushort v9, v[4:5]
	v_add_co_u32_e32 v0, vcc, s6, v0
	v_addc_co_u32_e32 v1, vcc, v1, v6, vcc
	v_add_co_u32_e32 v4, vcc, s8, v4
	v_addc_co_u32_e32 v5, vcc, v5, v8, vcc
	v_cmp_le_i64_e32 vcc, s[12:13], v[0:1]
	s_or_b64 s[16:17], vcc, s[16:17]
	s_waitcnt vmcnt(0) lgkmcnt(0)
	v_lshlrev_b32_e32 v9, 16, v9
	global_store_dword v[2:3], v9, off
	v_add_co_u32_e32 v2, vcc, s4, v2
	v_addc_co_u32_e32 v3, vcc, v3, v7, vcc
	s_andn2_b64 exec, exec, s[16:17]
	s_cbranch_execnz .LBB2_8
; %bb.9:
	s_or_b64 exec, exec, s[16:17]
.LBB2_10:
	s_or_b64 exec, exec, s[0:1]
	s_lshr_b64 s[2:3], s[2:3], 2
	v_cmp_gt_u64_e32 vcc, s[2:3], v[0:1]
	s_and_saveexec_b64 s[0:1], vcc
	s_cbranch_execz .LBB2_13
; %bb.11:
	s_add_u32 s0, s26, s22
	s_addc_u32 s1, s27, s23
	s_add_u32 s0, s0, s20
	s_addc_u32 s1, s1, s21
	v_lshlrev_b64 v[2:3], 2, v[0:1]
	s_add_u32 s0, s14, s0
	s_addc_u32 s1, s15, s1
	v_mov_b32_e32 v4, s1
	v_add_co_u32_e32 v2, vcc, s0, v2
	s_lshl_b64 s[4:5], s[18:19], 9
	v_addc_co_u32_e32 v3, vcc, v4, v3, vcc
	s_mov_b64 s[8:9], 0
	v_mov_b32_e32 v4, 0
	v_mov_b32_e32 v5, s7
	;; [unrolled: 1-line block ×3, first 2 shown]
.LBB2_12:                               ; =>This Inner Loop Header: Depth=1
	v_add_co_u32_e32 v0, vcc, s6, v0
	v_addc_co_u32_e32 v1, vcc, v1, v5, vcc
	v_cmp_le_i64_e64 s[0:1], s[2:3], v[0:1]
	global_store_dword v[2:3], v4, off
	v_add_co_u32_e32 v2, vcc, s4, v2
	s_or_b64 s[8:9], s[0:1], s[8:9]
	v_addc_co_u32_e32 v3, vcc, v3, v6, vcc
	s_andn2_b64 exec, exec, s[8:9]
	s_cbranch_execnz .LBB2_12
.LBB2_13:
	s_endpgm
.LBB2_14:
                                        ; implicit-def: $sgpr24_sgpr25
	s_load_dwordx4 s[20:23], s[4:5], 0x40
	v_cvt_f32_u32_e32 v1, s12
	s_branch .LBB2_2
.LBB2_15:
                                        ; implicit-def: $sgpr36_sgpr37
	s_load_dwordx2 s[26:27], s[28:29], 0x0
	s_load_dwordx2 s[18:19], s[16:17], 0x0
	s_branch .LBB2_5
	.section	.rodata,"a",@progbits
	.p2align	6, 0x0
	.amdhsa_kernel _ZN2at6native6detailL21chunk_cat_cuda_kernelIfN3c108BFloat16EEEvPPT0_PT_PlSA_SA_SA_SA_SA_lll
		.amdhsa_group_segment_fixed_size 0
		.amdhsa_private_segment_fixed_size 0
		.amdhsa_kernarg_size 88
		.amdhsa_user_sgpr_count 6
		.amdhsa_user_sgpr_private_segment_buffer 1
		.amdhsa_user_sgpr_dispatch_ptr 0
		.amdhsa_user_sgpr_queue_ptr 0
		.amdhsa_user_sgpr_kernarg_segment_ptr 1
		.amdhsa_user_sgpr_dispatch_id 0
		.amdhsa_user_sgpr_flat_scratch_init 0
		.amdhsa_user_sgpr_private_segment_size 0
		.amdhsa_uses_dynamic_stack 0
		.amdhsa_system_sgpr_private_segment_wavefront_offset 0
		.amdhsa_system_sgpr_workgroup_id_x 1
		.amdhsa_system_sgpr_workgroup_id_y 1
		.amdhsa_system_sgpr_workgroup_id_z 1
		.amdhsa_system_sgpr_workgroup_info 0
		.amdhsa_system_vgpr_workitem_id 0
		.amdhsa_next_free_vgpr 10
		.amdhsa_next_free_sgpr 45
		.amdhsa_reserve_vcc 1
		.amdhsa_reserve_flat_scratch 0
		.amdhsa_float_round_mode_32 0
		.amdhsa_float_round_mode_16_64 0
		.amdhsa_float_denorm_mode_32 3
		.amdhsa_float_denorm_mode_16_64 3
		.amdhsa_dx10_clamp 1
		.amdhsa_ieee_mode 1
		.amdhsa_fp16_overflow 0
		.amdhsa_exception_fp_ieee_invalid_op 0
		.amdhsa_exception_fp_denorm_src 0
		.amdhsa_exception_fp_ieee_div_zero 0
		.amdhsa_exception_fp_ieee_overflow 0
		.amdhsa_exception_fp_ieee_underflow 0
		.amdhsa_exception_fp_ieee_inexact 0
		.amdhsa_exception_int_div_zero 0
	.end_amdhsa_kernel
	.section	.text._ZN2at6native6detailL21chunk_cat_cuda_kernelIfN3c108BFloat16EEEvPPT0_PT_PlSA_SA_SA_SA_SA_lll,"axG",@progbits,_ZN2at6native6detailL21chunk_cat_cuda_kernelIfN3c108BFloat16EEEvPPT0_PT_PlSA_SA_SA_SA_SA_lll,comdat
.Lfunc_end2:
	.size	_ZN2at6native6detailL21chunk_cat_cuda_kernelIfN3c108BFloat16EEEvPPT0_PT_PlSA_SA_SA_SA_SA_lll, .Lfunc_end2-_ZN2at6native6detailL21chunk_cat_cuda_kernelIfN3c108BFloat16EEEvPPT0_PT_PlSA_SA_SA_SA_SA_lll
                                        ; -- End function
	.set _ZN2at6native6detailL21chunk_cat_cuda_kernelIfN3c108BFloat16EEEvPPT0_PT_PlSA_SA_SA_SA_SA_lll.num_vgpr, 10
	.set _ZN2at6native6detailL21chunk_cat_cuda_kernelIfN3c108BFloat16EEEvPPT0_PT_PlSA_SA_SA_SA_SA_lll.num_agpr, 0
	.set _ZN2at6native6detailL21chunk_cat_cuda_kernelIfN3c108BFloat16EEEvPPT0_PT_PlSA_SA_SA_SA_SA_lll.numbered_sgpr, 45
	.set _ZN2at6native6detailL21chunk_cat_cuda_kernelIfN3c108BFloat16EEEvPPT0_PT_PlSA_SA_SA_SA_SA_lll.num_named_barrier, 0
	.set _ZN2at6native6detailL21chunk_cat_cuda_kernelIfN3c108BFloat16EEEvPPT0_PT_PlSA_SA_SA_SA_SA_lll.private_seg_size, 0
	.set _ZN2at6native6detailL21chunk_cat_cuda_kernelIfN3c108BFloat16EEEvPPT0_PT_PlSA_SA_SA_SA_SA_lll.uses_vcc, 1
	.set _ZN2at6native6detailL21chunk_cat_cuda_kernelIfN3c108BFloat16EEEvPPT0_PT_PlSA_SA_SA_SA_SA_lll.uses_flat_scratch, 0
	.set _ZN2at6native6detailL21chunk_cat_cuda_kernelIfN3c108BFloat16EEEvPPT0_PT_PlSA_SA_SA_SA_SA_lll.has_dyn_sized_stack, 0
	.set _ZN2at6native6detailL21chunk_cat_cuda_kernelIfN3c108BFloat16EEEvPPT0_PT_PlSA_SA_SA_SA_SA_lll.has_recursion, 0
	.set _ZN2at6native6detailL21chunk_cat_cuda_kernelIfN3c108BFloat16EEEvPPT0_PT_PlSA_SA_SA_SA_SA_lll.has_indirect_call, 0
	.section	.AMDGPU.csdata,"",@progbits
; Kernel info:
; codeLenInByte = 1972
; TotalNumSgprs: 49
; NumVgprs: 10
; ScratchSize: 0
; MemoryBound: 0
; FloatMode: 240
; IeeeMode: 1
; LDSByteSize: 0 bytes/workgroup (compile time only)
; SGPRBlocks: 6
; VGPRBlocks: 2
; NumSGPRsForWavesPerEU: 49
; NumVGPRsForWavesPerEU: 10
; Occupancy: 10
; WaveLimiterHint : 1
; COMPUTE_PGM_RSRC2:SCRATCH_EN: 0
; COMPUTE_PGM_RSRC2:USER_SGPR: 6
; COMPUTE_PGM_RSRC2:TRAP_HANDLER: 0
; COMPUTE_PGM_RSRC2:TGID_X_EN: 1
; COMPUTE_PGM_RSRC2:TGID_Y_EN: 1
; COMPUTE_PGM_RSRC2:TGID_Z_EN: 1
; COMPUTE_PGM_RSRC2:TIDIG_COMP_CNT: 0
	.section	.AMDGPU.gpr_maximums,"",@progbits
	.set amdgpu.max_num_vgpr, 0
	.set amdgpu.max_num_agpr, 0
	.set amdgpu.max_num_sgpr, 0
	.section	.AMDGPU.csdata,"",@progbits
	.type	__hip_cuid_7ba2749344f0ce6d,@object ; @__hip_cuid_7ba2749344f0ce6d
	.section	.bss,"aw",@nobits
	.globl	__hip_cuid_7ba2749344f0ce6d
__hip_cuid_7ba2749344f0ce6d:
	.byte	0                               ; 0x0
	.size	__hip_cuid_7ba2749344f0ce6d, 1

	.ident	"AMD clang version 22.0.0git (https://github.com/RadeonOpenCompute/llvm-project roc-7.2.4 26084 f58b06dce1f9c15707c5f808fd002e18c2accf7e)"
	.section	".note.GNU-stack","",@progbits
	.addrsig
	.addrsig_sym __hip_cuid_7ba2749344f0ce6d
	.amdgpu_metadata
---
amdhsa.kernels:
  - .args:
      - .address_space:  global
        .offset:         0
        .size:           8
        .value_kind:     global_buffer
      - .address_space:  global
        .offset:         8
        .size:           8
        .value_kind:     global_buffer
      - .address_space:  global
        .offset:         16
        .size:           8
        .value_kind:     global_buffer
      - .address_space:  global
        .offset:         24
        .size:           8
        .value_kind:     global_buffer
      - .address_space:  global
        .offset:         32
        .size:           8
        .value_kind:     global_buffer
      - .offset:         40
        .size:           8
        .value_kind:     by_value
      - .offset:         48
        .size:           8
        .value_kind:     by_value
      - .offset:         56
        .size:           4
        .value_kind:     hidden_block_count_x
      - .offset:         60
        .size:           4
        .value_kind:     hidden_block_count_y
      - .offset:         64
        .size:           4
        .value_kind:     hidden_block_count_z
      - .offset:         68
        .size:           2
        .value_kind:     hidden_group_size_x
      - .offset:         70
        .size:           2
        .value_kind:     hidden_group_size_y
      - .offset:         72
        .size:           2
        .value_kind:     hidden_group_size_z
      - .offset:         74
        .size:           2
        .value_kind:     hidden_remainder_x
      - .offset:         76
        .size:           2
        .value_kind:     hidden_remainder_y
      - .offset:         78
        .size:           2
        .value_kind:     hidden_remainder_z
      - .offset:         96
        .size:           8
        .value_kind:     hidden_global_offset_x
      - .offset:         104
        .size:           8
        .value_kind:     hidden_global_offset_y
      - .offset:         112
        .size:           8
        .value_kind:     hidden_global_offset_z
      - .offset:         120
        .size:           2
        .value_kind:     hidden_grid_dims
    .group_segment_fixed_size: 0
    .kernarg_segment_align: 8
    .kernarg_segment_size: 312
    .language:       OpenCL C
    .language_version:
      - 2
      - 0
    .max_flat_workgroup_size: 1024
    .name:           _ZN2at6native6detailL51split_with_sizes_copy_out_contiguous_no_cast_kernelEPPcS3_PlS4_S4_ll
    .private_segment_fixed_size: 0
    .sgpr_count:     43
    .sgpr_spill_count: 0
    .symbol:         _ZN2at6native6detailL51split_with_sizes_copy_out_contiguous_no_cast_kernelEPPcS3_PlS4_S4_ll.kd
    .uniform_work_group_size: 1
    .uses_dynamic_stack: false
    .vgpr_count:     23
    .vgpr_spill_count: 0
    .wavefront_size: 64
  - .args:
      - .address_space:  global
        .offset:         0
        .size:           8
        .value_kind:     global_buffer
      - .address_space:  global
        .offset:         8
        .size:           8
        .value_kind:     global_buffer
      - .address_space:  global
        .offset:         16
        .size:           8
        .value_kind:     global_buffer
      - .address_space:  global
        .offset:         24
        .size:           8
        .value_kind:     global_buffer
      - .address_space:  global
        .offset:         32
        .size:           8
        .value_kind:     global_buffer
      - .address_space:  global
        .offset:         40
        .size:           8
        .value_kind:     global_buffer
      - .address_space:  global
        .offset:         48
        .size:           8
        .value_kind:     global_buffer
      - .address_space:  global
        .offset:         56
        .size:           8
        .value_kind:     global_buffer
      - .offset:         64
        .size:           8
        .value_kind:     by_value
      - .offset:         72
        .size:           8
        .value_kind:     by_value
      - .offset:         80
        .size:           8
        .value_kind:     by_value
    .group_segment_fixed_size: 0
    .kernarg_segment_align: 8
    .kernarg_segment_size: 88
    .language:       OpenCL C
    .language_version:
      - 2
      - 0
    .max_flat_workgroup_size: 1024
    .name:           _ZN2at6native6detailL21chunk_cat_cuda_kernelIccEEvPPT0_PT_PlS8_S8_S8_S8_S8_lll
    .private_segment_fixed_size: 0
    .sgpr_count:     50
    .sgpr_spill_count: 0
    .symbol:         _ZN2at6native6detailL21chunk_cat_cuda_kernelIccEEvPPT0_PT_PlS8_S8_S8_S8_S8_lll.kd
    .uniform_work_group_size: 1
    .uses_dynamic_stack: false
    .vgpr_count:     15
    .vgpr_spill_count: 0
    .wavefront_size: 64
  - .args:
      - .address_space:  global
        .offset:         0
        .size:           8
        .value_kind:     global_buffer
      - .address_space:  global
        .offset:         8
        .size:           8
        .value_kind:     global_buffer
      - .address_space:  global
        .offset:         16
        .size:           8
        .value_kind:     global_buffer
      - .address_space:  global
        .offset:         24
        .size:           8
        .value_kind:     global_buffer
      - .address_space:  global
        .offset:         32
        .size:           8
        .value_kind:     global_buffer
      - .address_space:  global
        .offset:         40
        .size:           8
        .value_kind:     global_buffer
      - .address_space:  global
        .offset:         48
        .size:           8
        .value_kind:     global_buffer
      - .address_space:  global
        .offset:         56
        .size:           8
        .value_kind:     global_buffer
      - .offset:         64
        .size:           8
        .value_kind:     by_value
      - .offset:         72
        .size:           8
        .value_kind:     by_value
      - .offset:         80
        .size:           8
        .value_kind:     by_value
    .group_segment_fixed_size: 0
    .kernarg_segment_align: 8
    .kernarg_segment_size: 88
    .language:       OpenCL C
    .language_version:
      - 2
      - 0
    .max_flat_workgroup_size: 1024
    .name:           _ZN2at6native6detailL21chunk_cat_cuda_kernelIfN3c108BFloat16EEEvPPT0_PT_PlSA_SA_SA_SA_SA_lll
    .private_segment_fixed_size: 0
    .sgpr_count:     49
    .sgpr_spill_count: 0
    .symbol:         _ZN2at6native6detailL21chunk_cat_cuda_kernelIfN3c108BFloat16EEEvPPT0_PT_PlSA_SA_SA_SA_SA_lll.kd
    .uniform_work_group_size: 1
    .uses_dynamic_stack: false
    .vgpr_count:     10
    .vgpr_spill_count: 0
    .wavefront_size: 64
amdhsa.target:   amdgcn-amd-amdhsa--gfx906
amdhsa.version:
  - 1
  - 2
...

	.end_amdgpu_metadata
